;; amdgpu-corpus repo=ROCm/rocFFT kind=compiled arch=gfx906 opt=O3
	.text
	.amdgcn_target "amdgcn-amd-amdhsa--gfx906"
	.amdhsa_code_object_version 6
	.protected	bluestein_single_fwd_len160_dim1_dp_op_CI_CI ; -- Begin function bluestein_single_fwd_len160_dim1_dp_op_CI_CI
	.globl	bluestein_single_fwd_len160_dim1_dp_op_CI_CI
	.p2align	8
	.type	bluestein_single_fwd_len160_dim1_dp_op_CI_CI,@function
bluestein_single_fwd_len160_dim1_dp_op_CI_CI: ; @bluestein_single_fwd_len160_dim1_dp_op_CI_CI
; %bb.0:
	s_load_dwordx4 s[0:3], s[4:5], 0x28
	v_lshrrev_b32_e32 v1, 4, v0
	v_lshl_or_b32 v100, s6, 4, v1
	v_mov_b32_e32 v101, 0
	s_waitcnt lgkmcnt(0)
	v_cmp_gt_u64_e32 vcc, s[0:1], v[100:101]
	s_and_saveexec_b64 s[0:1], vcc
	s_cbranch_execz .LBB0_15
; %bb.1:
	s_load_dwordx2 s[6:7], s[4:5], 0x0
	s_load_dwordx2 s[12:13], s[4:5], 0x38
	v_and_b32_e32 v102, 15, v0
	v_mul_u32_u24_e32 v103, 0xa0, v1
	v_cmp_gt_u32_e32 vcc, 10, v102
	v_lshlrev_b32_e32 v101, 4, v102
	v_or_b32_e32 v72, v103, v102
	v_add_lshl_u32 v50, v103, v102, 4
	s_and_saveexec_b64 s[14:15], vcc
	s_cbranch_execz .LBB0_3
; %bb.2:
	s_load_dwordx2 s[0:1], s[4:5], 0x18
	s_waitcnt lgkmcnt(0)
	s_load_dwordx4 s[8:11], s[0:1], 0x0
	s_waitcnt lgkmcnt(0)
	v_mad_u64_u32 v[0:1], s[0:1], s10, v100, 0
	v_mad_u64_u32 v[2:3], s[0:1], s8, v102, 0
	;; [unrolled: 1-line block ×4, first 2 shown]
	v_mov_b32_e32 v1, v4
	v_lshlrev_b64 v[0:1], 4, v[0:1]
	v_mov_b32_e32 v3, v5
	v_mov_b32_e32 v6, s3
	v_lshlrev_b64 v[2:3], 4, v[2:3]
	v_add_co_u32_e64 v0, s[0:1], s2, v0
	v_addc_co_u32_e64 v1, s[0:1], v6, v1, s[0:1]
	v_add_co_u32_e64 v16, s[0:1], v0, v2
	v_addc_co_u32_e64 v17, s[0:1], v1, v3, s[0:1]
	s_mul_i32 s0, s9, 0xa0
	s_mul_hi_u32 s2, s8, 0xa0
	s_add_i32 s2, s2, s0
	s_mul_i32 s3, s8, 0xa0
	v_mov_b32_e32 v0, s2
	v_add_co_u32_e64 v18, s[0:1], s3, v16
	v_addc_co_u32_e64 v19, s[0:1], v17, v0, s[0:1]
	global_load_dwordx4 v[0:3], v[16:17], off
	global_load_dwordx4 v[4:7], v[18:19], off
	global_load_dwordx4 v[8:11], v101, s[6:7]
	global_load_dwordx4 v[12:15], v101, s[6:7] offset:160
	v_mov_b32_e32 v16, s2
	v_add_co_u32_e64 v32, s[0:1], s3, v18
	v_addc_co_u32_e64 v33, s[0:1], v19, v16, s[0:1]
	v_add_co_u32_e64 v34, s[0:1], s3, v32
	v_addc_co_u32_e64 v35, s[0:1], v33, v16, s[0:1]
	global_load_dwordx4 v[16:19], v[32:33], off
	global_load_dwordx4 v[20:23], v[34:35], off
	global_load_dwordx4 v[24:27], v101, s[6:7] offset:320
	global_load_dwordx4 v[28:31], v101, s[6:7] offset:480
	v_mov_b32_e32 v32, s2
	v_add_co_u32_e64 v36, s[0:1], s3, v34
	v_addc_co_u32_e64 v37, s[0:1], v35, v32, s[0:1]
	v_mov_b32_e32 v38, s2
	v_add_co_u32_e64 v48, s[0:1], s3, v36
	v_addc_co_u32_e64 v49, s[0:1], v37, v38, s[0:1]
	global_load_dwordx4 v[32:35], v[36:37], off
	s_nop 0
	global_load_dwordx4 v[36:39], v[48:49], off
	global_load_dwordx4 v[40:43], v101, s[6:7] offset:640
	global_load_dwordx4 v[44:47], v101, s[6:7] offset:800
	v_mov_b32_e32 v51, s2
	v_add_co_u32_e64 v48, s[0:1], s3, v48
	v_addc_co_u32_e64 v49, s[0:1], v49, v51, s[0:1]
	global_load_dwordx4 v[51:54], v[48:49], off
	v_mov_b32_e32 v55, s2
	v_add_co_u32_e64 v48, s[0:1], s3, v48
	v_addc_co_u32_e64 v49, s[0:1], v49, v55, s[0:1]
	global_load_dwordx4 v[55:58], v[48:49], off
	global_load_dwordx4 v[59:62], v101, s[6:7] offset:960
	global_load_dwordx4 v[63:66], v101, s[6:7] offset:1120
	v_mov_b32_e32 v67, s2
	v_add_co_u32_e64 v48, s[0:1], s3, v48
	v_addc_co_u32_e64 v49, s[0:1], v49, v67, s[0:1]
	global_load_dwordx4 v[67:70], v[48:49], off
	v_mov_b32_e32 v71, s2
	v_add_co_u32_e64 v48, s[0:1], s3, v48
	v_addc_co_u32_e64 v49, s[0:1], v49, v71, s[0:1]
	global_load_dwordx4 v[73:76], v[48:49], off
	global_load_dwordx4 v[77:80], v101, s[6:7] offset:1280
	global_load_dwordx4 v[81:84], v101, s[6:7] offset:1440
	v_add_co_u32_e64 v48, s[0:1], s3, v48
	v_addc_co_u32_e64 v49, s[0:1], v49, v71, s[0:1]
	global_load_dwordx4 v[85:88], v[48:49], off
	v_add_co_u32_e64 v48, s[0:1], s3, v48
	v_addc_co_u32_e64 v49, s[0:1], v49, v71, s[0:1]
	global_load_dwordx4 v[89:92], v[48:49], off
	global_load_dwordx4 v[93:96], v101, s[6:7] offset:1600
	global_load_dwordx4 v[104:107], v101, s[6:7] offset:1760
	v_add_co_u32_e64 v48, s[0:1], s3, v48
	v_addc_co_u32_e64 v49, s[0:1], v49, v71, s[0:1]
	global_load_dwordx4 v[108:111], v[48:49], off
	;; [unrolled: 8-line block ×3, first 2 shown]
	v_add_co_u32_e64 v48, s[0:1], s3, v48
	v_addc_co_u32_e64 v49, s[0:1], v49, v71, s[0:1]
	global_load_dwordx4 v[128:131], v101, s[6:7] offset:2240
	global_load_dwordx4 v[132:135], v[48:49], off
	global_load_dwordx4 v[136:139], v101, s[6:7] offset:2400
	v_lshlrev_b32_e32 v71, 4, v72
	s_waitcnt vmcnt(29)
	v_mul_f64 v[48:49], v[2:3], v[10:11]
	v_mul_f64 v[10:11], v[0:1], v[10:11]
	v_fma_f64 v[0:1], v[0:1], v[8:9], v[48:49]
	v_fma_f64 v[2:3], v[2:3], v[8:9], -v[10:11]
	s_waitcnt vmcnt(28)
	v_mul_f64 v[8:9], v[6:7], v[14:15]
	v_mul_f64 v[10:11], v[4:5], v[14:15]
	s_waitcnt vmcnt(25)
	v_mul_f64 v[14:15], v[18:19], v[26:27]
	v_mul_f64 v[26:27], v[16:17], v[26:27]
	;; [unrolled: 3-line block ×3, first 2 shown]
	ds_write_b128 v71, v[0:3]
	v_fma_f64 v[0:1], v[4:5], v[12:13], v[8:9]
	v_fma_f64 v[2:3], v[6:7], v[12:13], -v[10:11]
	v_fma_f64 v[4:5], v[16:17], v[24:25], v[14:15]
	v_fma_f64 v[6:7], v[18:19], v[24:25], -v[26:27]
	s_waitcnt vmcnt(21)
	v_mul_f64 v[12:13], v[34:35], v[42:43]
	v_mul_f64 v[14:15], v[32:33], v[42:43]
	s_waitcnt vmcnt(20)
	v_mul_f64 v[16:17], v[38:39], v[46:47]
	v_mul_f64 v[18:19], v[36:37], v[46:47]
	v_fma_f64 v[8:9], v[20:21], v[28:29], v[48:49]
	v_fma_f64 v[10:11], v[22:23], v[28:29], -v[30:31]
	ds_write_b128 v50, v[0:3] offset:160
	v_fma_f64 v[12:13], v[32:33], v[40:41], v[12:13]
	v_fma_f64 v[14:15], v[34:35], v[40:41], -v[14:15]
	v_fma_f64 v[16:17], v[36:37], v[44:45], v[16:17]
	v_fma_f64 v[18:19], v[38:39], v[44:45], -v[18:19]
	s_waitcnt vmcnt(17)
	v_mul_f64 v[20:21], v[53:54], v[61:62]
	v_mul_f64 v[22:23], v[51:52], v[61:62]
	s_waitcnt vmcnt(16)
	v_mul_f64 v[24:25], v[57:58], v[65:66]
	v_mul_f64 v[26:27], v[55:56], v[65:66]
	v_lshl_add_u32 v32, v103, 4, v101
	v_fma_f64 v[20:21], v[51:52], v[59:60], v[20:21]
	v_fma_f64 v[22:23], v[53:54], v[59:60], -v[22:23]
	v_fma_f64 v[24:25], v[55:56], v[63:64], v[24:25]
	v_fma_f64 v[26:27], v[57:58], v[63:64], -v[26:27]
	s_waitcnt vmcnt(13)
	v_mul_f64 v[0:1], v[69:70], v[79:80]
	v_mul_f64 v[2:3], v[67:68], v[79:80]
	ds_write_b128 v32, v[4:7] offset:320
	ds_write_b128 v32, v[8:11] offset:480
	;; [unrolled: 1-line block ×6, first 2 shown]
	s_waitcnt vmcnt(12)
	v_mul_f64 v[4:5], v[75:76], v[83:84]
	v_mul_f64 v[6:7], v[73:74], v[83:84]
	v_fma_f64 v[0:1], v[67:68], v[77:78], v[0:1]
	v_fma_f64 v[2:3], v[69:70], v[77:78], -v[2:3]
	s_waitcnt vmcnt(9)
	v_mul_f64 v[8:9], v[87:88], v[95:96]
	v_mul_f64 v[10:11], v[85:86], v[95:96]
	s_waitcnt vmcnt(8)
	v_mul_f64 v[12:13], v[91:92], v[106:107]
	v_mul_f64 v[14:15], v[89:90], v[106:107]
	v_fma_f64 v[4:5], v[73:74], v[81:82], v[4:5]
	v_fma_f64 v[6:7], v[75:76], v[81:82], -v[6:7]
	v_fma_f64 v[8:9], v[85:86], v[93:94], v[8:9]
	v_fma_f64 v[10:11], v[87:88], v[93:94], -v[10:11]
	s_waitcnt vmcnt(5)
	v_mul_f64 v[16:17], v[110:111], v[118:119]
	v_mul_f64 v[18:19], v[108:109], v[118:119]
	s_waitcnt vmcnt(4)
	v_mul_f64 v[20:21], v[114:115], v[122:123]
	v_mul_f64 v[22:23], v[112:113], v[122:123]
	v_fma_f64 v[12:13], v[89:90], v[104:105], v[12:13]
	v_fma_f64 v[14:15], v[91:92], v[104:105], -v[14:15]
	v_fma_f64 v[16:17], v[108:109], v[116:117], v[16:17]
	s_waitcnt vmcnt(2)
	v_mul_f64 v[24:25], v[126:127], v[130:131]
	v_mul_f64 v[26:27], v[124:125], v[130:131]
	s_waitcnt vmcnt(0)
	v_mul_f64 v[28:29], v[134:135], v[138:139]
	v_mul_f64 v[30:31], v[132:133], v[138:139]
	v_fma_f64 v[18:19], v[110:111], v[116:117], -v[18:19]
	v_fma_f64 v[20:21], v[112:113], v[120:121], v[20:21]
	v_fma_f64 v[22:23], v[114:115], v[120:121], -v[22:23]
	v_fma_f64 v[24:25], v[124:125], v[128:129], v[24:25]
	;; [unrolled: 2-line block ×3, first 2 shown]
	v_fma_f64 v[30:31], v[134:135], v[136:137], -v[30:31]
	ds_write_b128 v32, v[0:3] offset:1280
	ds_write_b128 v32, v[4:7] offset:1440
	;; [unrolled: 1-line block ×8, first 2 shown]
.LBB0_3:
	s_or_b64 exec, exec, s[14:15]
	s_load_dwordx2 s[0:1], s[4:5], 0x20
	s_load_dwordx2 s[8:9], s[4:5], 0x8
	v_lshlrev_b32_e32 v104, 4, v103
	s_waitcnt lgkmcnt(0)
	s_barrier
	s_waitcnt lgkmcnt(0)
                                        ; implicit-def: $vgpr0_vgpr1
                                        ; implicit-def: $vgpr16_vgpr17
                                        ; implicit-def: $vgpr28_vgpr29
                                        ; implicit-def: $vgpr48_vgpr49
                                        ; implicit-def: $vgpr60_vgpr61
                                        ; implicit-def: $vgpr44_vgpr45
                                        ; implicit-def: $vgpr52_vgpr53
                                        ; implicit-def: $vgpr32_vgpr33
                                        ; implicit-def: $vgpr40_vgpr41
                                        ; implicit-def: $vgpr36_vgpr37
                                        ; implicit-def: $vgpr24_vgpr25
                                        ; implicit-def: $vgpr12_vgpr13
                                        ; implicit-def: $vgpr20_vgpr21
                                        ; implicit-def: $vgpr4_vgpr5
                                        ; implicit-def: $vgpr8_vgpr9
                                        ; implicit-def: $vgpr56_vgpr57
	s_and_saveexec_b64 s[2:3], vcc
	s_cbranch_execz .LBB0_5
; %bb.4:
	v_lshlrev_b32_e32 v0, 4, v72
	v_lshl_add_u32 v48, v102, 4, v104
	ds_read_b128 v[0:3], v0
	ds_read_b128 v[8:11], v48 offset:320
	ds_read_b128 v[4:7], v48 offset:480
	ds_read_b128 v[20:23], v48 offset:640
	ds_read_b128 v[12:15], v48 offset:800
	ds_read_b128 v[16:19], v48 offset:960
	ds_read_b128 v[24:27], v48 offset:1120
	ds_read_b128 v[36:39], v48 offset:1280
	ds_read_b128 v[28:31], v48 offset:1440
	ds_read_b128 v[40:43], v48 offset:1600
	ds_read_b128 v[32:35], v48 offset:1760
	ds_read_b128 v[52:55], v48 offset:1920
	ds_read_b128 v[44:47], v48 offset:2080
	ds_read_b128 v[60:63], v48 offset:2240
	ds_read_b128 v[56:59], v50 offset:160
	ds_read_b128 v[48:51], v48 offset:2400
.LBB0_5:
	s_or_b64 exec, exec, s[2:3]
	s_waitcnt lgkmcnt(8)
	v_add_f64 v[36:37], v[0:1], -v[36:37]
	v_add_f64 v[38:39], v[2:3], -v[38:39]
	s_waitcnt lgkmcnt(4)
	v_add_f64 v[52:53], v[20:21], -v[52:53]
	v_add_f64 v[54:55], v[22:23], -v[54:55]
	;; [unrolled: 1-line block ×4, first 2 shown]
	s_waitcnt lgkmcnt(2)
	v_add_f64 v[60:61], v[16:17], -v[60:61]
	v_add_f64 v[62:63], v[18:19], -v[62:63]
	v_fma_f64 v[0:1], v[0:1], 2.0, -v[36:37]
	v_fma_f64 v[2:3], v[2:3], 2.0, -v[38:39]
	;; [unrolled: 1-line block ×8, first 2 shown]
	s_waitcnt lgkmcnt(1)
	v_add_f64 v[28:29], v[56:57], -v[28:29]
	v_add_f64 v[30:31], v[58:59], -v[30:31]
	;; [unrolled: 1-line block ×6, first 2 shown]
	s_waitcnt lgkmcnt(0)
	v_add_f64 v[48:49], v[24:25], -v[48:49]
	v_add_f64 v[54:55], v[36:37], -v[54:55]
	;; [unrolled: 1-line block ×4, first 2 shown]
	v_fma_f64 v[56:57], v[56:57], 2.0, -v[28:29]
	v_fma_f64 v[58:59], v[58:59], 2.0, -v[30:31]
	;; [unrolled: 1-line block ×7, first 2 shown]
	v_add_f64 v[68:69], v[0:1], -v[20:21]
	v_add_f64 v[70:71], v[2:3], -v[22:23]
	v_add_f64 v[52:53], v[38:39], v[52:53]
	v_add_f64 v[73:74], v[8:9], -v[16:17]
	v_add_f64 v[75:76], v[10:11], -v[18:19]
	v_add_f64 v[60:61], v[60:61], v[42:43]
	v_fma_f64 v[6:7], v[36:37], 2.0, -v[54:55]
	v_fma_f64 v[20:21], v[40:41], 2.0, -v[62:63]
	s_mov_b32 s2, 0x667f3bcd
	s_mov_b32 s3, 0xbfe6a09e
	v_fma_f64 v[26:27], v[26:27], 2.0, -v[50:51]
	v_fma_f64 v[0:1], v[0:1], 2.0, -v[68:69]
	;; [unrolled: 1-line block ×7, first 2 shown]
	v_add_f64 v[38:39], v[56:57], -v[64:65]
	v_add_f64 v[40:41], v[58:59], -v[14:15]
	;; [unrolled: 1-line block ×5, first 2 shown]
	v_fma_f64 v[14:15], v[20:21], s[2:3], v[6:7]
	s_mov_b32 s17, 0x3fe6a09e
	s_mov_b32 s16, s2
	v_add_f64 v[44:45], v[44:45], v[30:31]
	v_add_f64 v[64:65], v[66:67], -v[26:27]
	v_add_f64 v[48:49], v[48:49], v[34:35]
	v_fma_f64 v[8:9], v[56:57], 2.0, -v[38:39]
	v_fma_f64 v[22:23], v[28:29], 2.0, -v[42:43]
	;; [unrolled: 1-line block ×3, first 2 shown]
	v_fma_f64 v[24:25], v[36:37], s[2:3], v[12:13]
	v_add_f64 v[4:5], v[0:1], -v[18:19]
	v_fma_f64 v[28:29], v[62:63], s[16:17], v[54:55]
	v_add_f64 v[18:19], v[2:3], -v[10:11]
	v_fma_f64 v[10:11], v[36:37], s[2:3], v[14:15]
	v_fma_f64 v[36:37], v[50:51], s[16:17], v[42:43]
	v_fma_f64 v[16:17], v[58:59], 2.0, -v[40:41]
	v_fma_f64 v[26:27], v[30:31], 2.0, -v[44:45]
	;; [unrolled: 1-line block ×5, first 2 shown]
	v_fma_f64 v[30:31], v[60:61], s[16:17], v[52:53]
	v_fma_f64 v[20:21], v[20:21], s[16:17], v[24:25]
	v_add_f64 v[14:15], v[68:69], -v[75:76]
	v_add_f64 v[24:25], v[70:71], v[73:74]
	v_fma_f64 v[34:35], v[60:61], s[2:3], v[28:29]
	v_fma_f64 v[66:67], v[48:49], s[16:17], v[44:45]
	v_add_f64 v[73:74], v[38:39], -v[64:65]
	v_add_f64 v[75:76], v[46:47], v[40:41]
	v_fma_f64 v[81:82], v[48:49], s[2:3], v[36:37]
	v_fma_f64 v[62:63], v[62:63], s[16:17], v[30:31]
	v_fma_f64 v[28:29], v[68:69], 2.0, -v[14:15]
	v_fma_f64 v[32:33], v[70:71], 2.0, -v[24:25]
	;; [unrolled: 1-line block ×3, first 2 shown]
	v_fma_f64 v[83:84], v[50:51], s[16:17], v[66:67]
	v_fma_f64 v[38:39], v[38:39], 2.0, -v[73:74]
	v_fma_f64 v[36:37], v[40:41], 2.0, -v[75:76]
	;; [unrolled: 1-line block ×3, first 2 shown]
	v_fma_f64 v[42:43], v[77:78], s[2:3], v[22:23]
	v_fma_f64 v[46:47], v[79:80], s[2:3], v[26:27]
	s_mov_b32 s4, 0xa6aea964
	s_mov_b32 s5, 0xbfd87de2
	v_fma_f64 v[60:61], v[52:53], 2.0, -v[62:63]
	v_fma_f64 v[44:45], v[44:45], 2.0, -v[83:84]
	v_fma_f64 v[48:49], v[38:39], s[2:3], v[28:29]
	v_fma_f64 v[50:51], v[36:37], s[2:3], v[32:33]
	;; [unrolled: 1-line block ×5, first 2 shown]
	s_mov_b32 s10, 0xcf328d46
	s_mov_b32 s11, 0xbfed906b
	s_mov_b32 s19, 0x3fed906b
	s_mov_b32 s18, s10
	s_mov_b32 s15, 0x3fd87de2
	s_mov_b32 s14, s4
	v_add_f64 v[64:65], v[8:9], -v[56:57]
	v_add_f64 v[66:67], v[16:17], -v[58:59]
	v_fma_f64 v[42:43], v[44:45], s[4:5], v[60:61]
	v_fma_f64 v[36:37], v[36:37], s[2:3], v[48:49]
	;; [unrolled: 1-line block ×11, first 2 shown]
	v_add_f64 v[40:41], v[4:5], -v[66:67]
	v_add_f64 v[42:43], v[18:19], v[64:65]
	v_fma_f64 v[48:49], v[70:71], s[10:11], v[48:49]
	v_fma_f64 v[50:51], v[68:69], s[18:19], v[50:51]
	;; [unrolled: 1-line block ×6, first 2 shown]
	s_barrier
	s_and_saveexec_b64 s[2:3], vcc
	s_cbranch_execz .LBB0_7
; %bb.6:
	v_fma_f64 v[77:78], v[12:13], 2.0, -v[20:21]
	v_fma_f64 v[12:13], v[26:27], 2.0, -v[70:71]
	;; [unrolled: 1-line block ×9, first 2 shown]
	v_fma_f64 v[64:65], v[12:13], s[10:11], v[77:78]
	v_fma_f64 v[2:3], v[62:63], 2.0, -v[58:59]
	v_fma_f64 v[68:69], v[26:27], s[10:11], v[70:71]
	v_fma_f64 v[0:1], v[34:35], 2.0, -v[56:57]
	v_add_f64 v[24:25], v[73:74], -v[16:17]
	v_fma_f64 v[34:35], v[60:61], 2.0, -v[46:47]
	v_add_f64 v[22:23], v[66:67], -v[8:9]
	v_fma_f64 v[18:19], v[18:19], 2.0, -v[42:43]
	v_fma_f64 v[64:65], v[26:27], s[14:15], v[64:65]
	v_fma_f64 v[16:17], v[4:5], 2.0, -v[40:41]
	v_fma_f64 v[62:63], v[12:13], s[4:5], v[68:69]
	v_fma_f64 v[68:69], v[32:33], 2.0, -v[38:39]
	v_fma_f64 v[75:76], v[73:74], 2.0, -v[24:25]
	;; [unrolled: 1-line block ×10, first 2 shown]
	v_add_lshl_u32 v8, v103, v101, 4
	ds_write_b128 v8, v[73:76]
	ds_write_b128 v8, v[77:80] offset:16
	ds_write_b128 v8, v[66:69] offset:32
	;; [unrolled: 1-line block ×15, first 2 shown]
.LBB0_7:
	s_or_b64 exec, exec, s[2:3]
	v_mov_b32_e32 v0, s8
	s_movk_i32 s4, 0x90
	v_mov_b32_e32 v1, s9
	v_mad_u64_u32 v[60:61], s[4:5], v102, s4, v[0:1]
	s_load_dwordx4 s[0:3], s[0:1], 0x0
	s_waitcnt lgkmcnt(0)
	s_barrier
	global_load_dwordx4 v[16:19], v[60:61], off
	global_load_dwordx4 v[8:11], v[60:61], off offset:16
	global_load_dwordx4 v[4:7], v[60:61], off offset:32
	global_load_dwordx4 v[0:3], v[60:61], off offset:48
	global_load_dwordx4 v[28:31], v[60:61], off offset:64
	global_load_dwordx4 v[20:23], v[60:61], off offset:80
	global_load_dwordx4 v[12:15], v[60:61], off offset:96
	global_load_dwordx4 v[24:27], v[60:61], off offset:112
	global_load_dwordx4 v[32:35], v[60:61], off offset:128
	v_lshlrev_b32_e32 v105, 4, v72
	ds_read_b128 v[60:63], v105
	ds_read_b128 v[64:67], v105 offset:256
	ds_read_b128 v[68:71], v105 offset:512
	;; [unrolled: 1-line block ×9, first 2 shown]
	s_mov_b32 s4, 0x134454ff
	s_mov_b32 s5, 0x3fee6f0e
	;; [unrolled: 1-line block ×12, first 2 shown]
	v_lshl_add_u32 v104, v102, 4, v104
	s_waitcnt vmcnt(8) lgkmcnt(8)
	v_mul_f64 v[106:107], v[66:67], v[18:19]
	s_waitcnt vmcnt(7) lgkmcnt(7)
	v_mul_f64 v[110:111], v[70:71], v[10:11]
	v_mul_f64 v[112:113], v[68:69], v[10:11]
	s_waitcnt vmcnt(5) lgkmcnt(5)
	v_mul_f64 v[118:119], v[78:79], v[2:3]
	;; [unrolled: 3-line block ×4, first 2 shown]
	v_mul_f64 v[108:109], v[64:65], v[18:19]
	v_mul_f64 v[114:115], v[74:75], v[6:7]
	;; [unrolled: 1-line block ×7, first 2 shown]
	v_fma_f64 v[68:69], v[68:69], v[8:9], -v[110:111]
	v_fma_f64 v[70:71], v[70:71], v[8:9], v[112:113]
	v_fma_f64 v[76:77], v[76:77], v[0:1], -v[118:119]
	v_fma_f64 v[78:79], v[78:79], v[0:1], v[120:121]
	;; [unrolled: 2-line block ×3, first 2 shown]
	v_fma_f64 v[92:93], v[92:93], v[24:25], -v[134:135]
	v_mul_f64 v[132:133], v[88:89], v[14:15]
	s_waitcnt vmcnt(0) lgkmcnt(0)
	v_mul_f64 v[140:141], v[96:97], v[34:35]
	v_fma_f64 v[64:65], v[64:65], v[16:17], -v[106:107]
	v_fma_f64 v[66:67], v[66:67], v[16:17], v[108:109]
	v_fma_f64 v[72:73], v[72:73], v[4:5], -v[114:115]
	v_fma_f64 v[74:75], v[74:75], v[4:5], v[116:117]
	;; [unrolled: 2-line block ×3, first 2 shown]
	v_fma_f64 v[94:95], v[94:95], v[24:25], v[136:137]
	v_fma_f64 v[88:89], v[88:89], v[12:13], -v[130:131]
	v_add_f64 v[106:107], v[60:61], v[68:69]
	v_add_f64 v[108:109], v[76:77], v[84:85]
	v_add_f64 v[114:115], v[68:69], -v[76:77]
	v_add_f64 v[116:117], v[92:93], -v[84:85]
	v_add_f64 v[118:119], v[68:69], v[92:93]
	v_add_f64 v[124:125], v[62:63], v[70:71]
	;; [unrolled: 1-line block ×3, first 2 shown]
	v_mul_f64 v[138:139], v[98:99], v[34:35]
	v_fma_f64 v[98:99], v[98:99], v[32:33], v[140:141]
	v_add_f64 v[110:111], v[70:71], -v[94:95]
	v_add_f64 v[112:113], v[78:79], -v[86:87]
	;; [unrolled: 1-line block ×7, first 2 shown]
	v_add_f64 v[134:135], v[70:71], v[94:95]
	v_add_f64 v[70:71], v[78:79], -v[70:71]
	v_add_f64 v[140:141], v[80:81], v[88:89]
	v_add_f64 v[76:77], v[106:107], v[76:77]
	v_fma_f64 v[106:107], v[108:109], -0.5, v[60:61]
	v_add_f64 v[108:109], v[114:115], v[116:117]
	v_fma_f64 v[60:61], v[118:119], -0.5, v[60:61]
	;; [unrolled: 2-line block ×3, first 2 shown]
	v_fma_f64 v[90:91], v[90:91], v[12:13], v[132:133]
	v_fma_f64 v[96:97], v[96:97], v[32:33], -v[138:139]
	v_add_f64 v[132:133], v[94:95], -v[86:87]
	v_add_f64 v[136:137], v[86:87], -v[94:95]
	v_add_f64 v[138:139], v[64:65], v[72:73]
	v_add_f64 v[142:143], v[74:75], -v[98:99]
	v_add_f64 v[114:115], v[120:121], v[122:123]
	v_fma_f64 v[62:63], v[134:135], -0.5, v[62:63]
	v_fma_f64 v[122:123], v[140:141], -0.5, v[64:65]
	v_add_f64 v[76:77], v[76:77], v[84:85]
	v_fma_f64 v[84:85], v[110:111], s[4:5], v[106:107]
	v_fma_f64 v[106:107], v[110:111], s[14:15], v[106:107]
	;; [unrolled: 1-line block ×4, first 2 shown]
	v_add_f64 v[78:79], v[78:79], v[86:87]
	v_fma_f64 v[86:87], v[68:69], s[14:15], v[116:117]
	v_fma_f64 v[116:117], v[68:69], s[4:5], v[116:117]
	v_add_f64 v[144:145], v[82:83], -v[90:91]
	v_add_f64 v[146:147], v[72:73], -v[80:81]
	;; [unrolled: 1-line block ×3, first 2 shown]
	v_add_f64 v[150:151], v[72:73], v[96:97]
	v_add_f64 v[118:119], v[130:131], v[132:133]
	;; [unrolled: 1-line block ×3, first 2 shown]
	v_fma_f64 v[126:127], v[128:129], s[4:5], v[62:63]
	v_fma_f64 v[62:63], v[128:129], s[14:15], v[62:63]
	;; [unrolled: 1-line block ×7, first 2 shown]
	v_add_f64 v[92:93], v[76:77], v[92:93]
	v_fma_f64 v[76:77], v[128:129], s[8:9], v[116:117]
	v_fma_f64 v[86:87], v[128:129], s[16:17], v[86:87]
	v_add_f64 v[94:95], v[78:79], v[94:95]
	v_fma_f64 v[110:111], v[108:109], s[10:11], v[84:85]
	v_fma_f64 v[106:107], v[108:109], s[10:11], v[106:107]
	;; [unrolled: 1-line block ×5, first 2 shown]
	v_add_f64 v[70:71], v[70:71], v[136:137]
	v_fma_f64 v[116:117], v[118:119], s[10:11], v[76:77]
	v_fma_f64 v[64:65], v[150:151], -0.5, v[64:65]
	v_fma_f64 v[62:63], v[68:69], s[8:9], v[62:63]
	v_add_f64 v[68:69], v[120:121], v[88:89]
	v_fma_f64 v[76:77], v[144:145], s[8:9], v[130:131]
	v_add_f64 v[78:79], v[146:147], v[148:149]
	v_add_f64 v[84:85], v[82:83], v[90:91]
	v_fma_f64 v[114:115], v[118:119], s[10:11], v[86:87]
	v_fma_f64 v[118:119], v[70:71], s[10:11], v[60:61]
	;; [unrolled: 1-line block ×5, first 2 shown]
	v_add_f64 v[122:123], v[68:69], v[96:97]
	v_add_f64 v[62:63], v[74:75], v[98:99]
	v_fma_f64 v[68:69], v[78:79], s[10:11], v[76:77]
	v_fma_f64 v[70:71], v[84:85], -0.5, v[66:67]
	v_add_f64 v[76:77], v[72:73], -v[96:97]
	v_add_f64 v[124:125], v[80:81], -v[88:89]
	v_fma_f64 v[84:85], v[142:143], s[8:9], v[86:87]
	v_add_f64 v[86:87], v[66:67], v[74:75]
	v_fma_f64 v[64:65], v[144:145], s[4:5], v[64:65]
	v_fma_f64 v[62:63], v[62:63], -0.5, v[66:67]
	v_add_f64 v[66:67], v[80:81], -v[72:73]
	v_add_f64 v[72:73], v[88:89], -v[96:97]
	v_fma_f64 v[80:81], v[76:77], s[14:15], v[70:71]
	v_add_f64 v[88:89], v[74:75], -v[82:83]
	v_add_f64 v[96:97], v[98:99], -v[90:91]
	v_add_f64 v[86:87], v[86:87], v[82:83]
	v_add_f64 v[74:75], v[82:83], -v[74:75]
	v_fma_f64 v[126:127], v[124:125], s[4:5], v[62:63]
	v_add_f64 v[82:83], v[90:91], -v[98:99]
	v_fma_f64 v[70:71], v[76:77], s[4:5], v[70:71]
	v_fma_f64 v[80:81], v[124:125], s[16:17], v[80:81]
	;; [unrolled: 1-line block ×3, first 2 shown]
	v_add_f64 v[88:89], v[88:89], v[96:97]
	v_fma_f64 v[60:61], v[144:145], s[16:17], v[60:61]
	v_add_f64 v[66:67], v[66:67], v[72:73]
	v_fma_f64 v[64:65], v[142:143], s[16:17], v[64:65]
	v_fma_f64 v[72:73], v[76:77], s[16:17], v[126:127]
	v_add_f64 v[74:75], v[74:75], v[82:83]
	v_fma_f64 v[70:71], v[124:125], s[8:9], v[70:71]
	v_fma_f64 v[62:63], v[76:77], s[8:9], v[62:63]
	;; [unrolled: 1-line block ×3, first 2 shown]
	v_add_f64 v[82:83], v[86:87], v[90:91]
	v_fma_f64 v[76:77], v[78:79], s[10:11], v[60:61]
	v_fma_f64 v[78:79], v[66:67], s[10:11], v[84:85]
	;; [unrolled: 1-line block ×6, first 2 shown]
	v_mul_f64 v[72:73], v[80:81], s[8:9]
	v_add_f64 v[82:83], v[82:83], v[98:99]
	v_mul_f64 v[86:87], v[76:77], s[18:19]
	v_mul_f64 v[90:91], v[78:79], s[14:15]
	;; [unrolled: 1-line block ×6, first 2 shown]
	v_fma_f64 v[88:89], v[68:69], s[18:19], v[72:73]
	v_mul_f64 v[72:73], v[68:69], s[16:17]
	v_fma_f64 v[86:87], v[70:71], s[8:9], -v[86:87]
	v_fma_f64 v[90:91], v[66:67], s[10:11], v[90:91]
	v_fma_f64 v[126:127], v[62:63], s[4:5], -v[84:85]
	v_fma_f64 v[124:125], v[78:79], s[10:11], v[74:75]
	v_fma_f64 v[98:99], v[76:77], s[16:17], -v[98:99]
	v_fma_f64 v[130:131], v[64:65], s[14:15], -v[96:97]
	v_add_f64 v[60:61], v[92:93], v[122:123]
	v_fma_f64 v[128:129], v[80:81], s[18:19], v[72:73]
	v_add_f64 v[68:69], v[110:111], v[88:89]
	v_add_f64 v[72:73], v[106:107], v[86:87]
	;; [unrolled: 1-line block ×9, first 2 shown]
	v_add_f64 v[84:85], v[92:93], -v[122:123]
	v_add_f64 v[80:81], v[110:111], -v[88:89]
	v_add_f64 v[88:89], v[108:109], -v[124:125]
	v_add_f64 v[92:93], v[112:113], -v[126:127]
	v_add_f64 v[96:97], v[106:107], -v[86:87]
	v_add_f64 v[86:87], v[94:95], -v[82:83]
	v_add_f64 v[82:83], v[114:115], -v[128:129]
	v_add_f64 v[90:91], v[118:119], -v[90:91]
	v_add_f64 v[94:95], v[120:121], -v[130:131]
	v_add_f64 v[98:99], v[116:117], -v[98:99]
	ds_write_b128 v105, v[60:63]
	ds_write_b128 v105, v[68:71] offset:256
	ds_write_b128 v104, v[64:67] offset:512
	;; [unrolled: 1-line block ×9, first 2 shown]
	s_waitcnt lgkmcnt(0)
	s_barrier
	s_and_saveexec_b64 s[4:5], vcc
	s_cbranch_execz .LBB0_9
; %bb.8:
	global_load_dwordx4 v[110:113], v101, s[6:7] offset:2560
	ds_read_b128 v[106:109], v105
	s_add_u32 s8, s6, 0xa00
	s_addc_u32 s9, s7, 0
	s_waitcnt vmcnt(0) lgkmcnt(0)
	v_mul_f64 v[114:115], v[108:109], v[112:113]
	v_fma_f64 v[114:115], v[106:107], v[110:111], -v[114:115]
	v_mul_f64 v[106:107], v[106:107], v[112:113]
	v_fma_f64 v[116:117], v[108:109], v[110:111], v[106:107]
	global_load_dwordx4 v[110:113], v101, s[8:9] offset:160
	ds_write_b128 v105, v[114:117]
	ds_read_b128 v[106:109], v104 offset:160
	s_waitcnt vmcnt(0) lgkmcnt(0)
	v_mul_f64 v[114:115], v[108:109], v[112:113]
	v_fma_f64 v[114:115], v[106:107], v[110:111], -v[114:115]
	v_mul_f64 v[106:107], v[106:107], v[112:113]
	v_fma_f64 v[116:117], v[108:109], v[110:111], v[106:107]
	global_load_dwordx4 v[110:113], v101, s[8:9] offset:320
	ds_read_b128 v[106:109], v104 offset:320
	ds_write_b128 v104, v[114:117] offset:160
	s_waitcnt vmcnt(0) lgkmcnt(1)
	v_mul_f64 v[114:115], v[108:109], v[112:113]
	v_fma_f64 v[114:115], v[106:107], v[110:111], -v[114:115]
	v_mul_f64 v[106:107], v[106:107], v[112:113]
	v_fma_f64 v[116:117], v[108:109], v[110:111], v[106:107]
	global_load_dwordx4 v[110:113], v101, s[8:9] offset:480
	ds_read_b128 v[106:109], v104 offset:480
	ds_write_b128 v104, v[114:117] offset:320
	;; [unrolled: 8-line block ×14, first 2 shown]
	s_waitcnt vmcnt(0) lgkmcnt(1)
	v_mul_f64 v[114:115], v[108:109], v[112:113]
	v_fma_f64 v[114:115], v[106:107], v[110:111], -v[114:115]
	v_mul_f64 v[106:107], v[106:107], v[112:113]
	v_fma_f64 v[116:117], v[108:109], v[110:111], v[106:107]
	ds_write_b128 v104, v[114:117] offset:2400
.LBB0_9:
	s_or_b64 exec, exec, s[4:5]
	s_waitcnt lgkmcnt(0)
	s_barrier
	s_and_saveexec_b64 s[4:5], vcc
	s_cbranch_execz .LBB0_11
; %bb.10:
	ds_read_b128 v[60:63], v105
	ds_read_b128 v[68:71], v104 offset:160
	ds_read_b128 v[64:67], v104 offset:320
	;; [unrolled: 1-line block ×15, first 2 shown]
.LBB0_11:
	s_or_b64 exec, exec, s[4:5]
	s_waitcnt lgkmcnt(0)
	s_barrier
	s_and_saveexec_b64 s[4:5], vcc
	s_cbranch_execz .LBB0_13
; %bb.12:
	v_add_f64 v[106:107], v[66:67], -v[38:39]
	v_add_f64 v[52:53], v[80:81], -v[52:53]
	;; [unrolled: 1-line block ×18, first 2 shown]
	v_add_f64 v[116:117], v[54:55], v[36:37]
	v_add_f64 v[128:129], v[92:93], v[42:43]
	s_mov_b32 s8, 0x667f3bcd
	s_mov_b32 s9, 0x3fe6a09e
	v_add_f64 v[112:113], v[46:47], -v[56:57]
	v_add_f64 v[114:115], v[98:99], -v[48:49]
	v_fma_f64 v[38:39], v[108:109], s[8:9], v[110:111]
	v_add_f64 v[118:119], v[58:59], v[44:45]
	v_add_f64 v[120:121], v[50:51], v[96:97]
	v_fma_f64 v[130:131], v[116:117], s[8:9], v[128:129]
	s_mov_b32 s11, 0xbfe6a09e
	s_mov_b32 s10, s8
	v_fma_f64 v[62:63], v[62:63], 2.0, -v[94:95]
	v_fma_f64 v[74:75], v[74:75], 2.0, -v[42:43]
	v_fma_f64 v[124:125], v[116:117], s[10:11], v[38:39]
	v_fma_f64 v[64:65], v[64:65], 2.0, -v[36:37]
	v_fma_f64 v[38:39], v[118:119], s[8:9], v[120:121]
	v_fma_f64 v[52:53], v[80:81], 2.0, -v[52:53]
	v_fma_f64 v[70:71], v[70:71], 2.0, -v[98:99]
	;; [unrolled: 1-line block ×5, first 2 shown]
	v_fma_f64 v[80:81], v[108:109], s[8:9], v[130:131]
	v_fma_f64 v[58:59], v[90:91], 2.0, -v[58:59]
	v_fma_f64 v[68:69], v[68:69], 2.0, -v[96:97]
	;; [unrolled: 1-line block ×7, first 2 shown]
	v_fma_f64 v[122:123], v[112:113], s[8:9], v[114:115]
	v_fma_f64 v[126:127], v[112:113], s[8:9], v[38:39]
	v_add_f64 v[74:75], v[62:63], -v[74:75]
	v_add_f64 v[52:53], v[64:65], -v[52:53]
	;; [unrolled: 1-line block ×4, first 2 shown]
	v_fma_f64 v[56:57], v[78:79], 2.0, -v[46:47]
	v_add_f64 v[112:113], v[68:69], -v[48:49]
	v_fma_f64 v[46:47], v[66:67], 2.0, -v[106:107]
	v_fma_f64 v[48:49], v[82:83], 2.0, -v[54:55]
	v_fma_f64 v[54:55], v[60:61], 2.0, -v[92:93]
	v_fma_f64 v[40:41], v[72:73], 2.0, -v[40:41]
	v_fma_f64 v[60:61], v[94:95], s[10:11], v[90:91]
	v_fma_f64 v[36:37], v[36:37], 2.0, -v[116:117]
	v_fma_f64 v[66:67], v[108:109], s[10:11], v[98:99]
	v_fma_f64 v[44:45], v[44:45], 2.0, -v[118:119]
	v_fma_f64 v[72:73], v[96:97], 2.0, -v[120:121]
	;; [unrolled: 1-line block ×3, first 2 shown]
	v_add_f64 v[84:85], v[74:75], -v[52:53]
	v_add_f64 v[88:89], v[86:87], -v[50:51]
	;; [unrolled: 1-line block ×5, first 2 shown]
	v_fma_f64 v[60:61], v[36:37], s[10:11], v[60:61]
	v_fma_f64 v[116:117], v[44:45], s[10:11], v[66:67]
	v_fma_f64 v[40:41], v[44:45], s[10:11], v[72:73]
	v_fma_f64 v[44:45], v[36:37], s[10:11], v[82:83]
	s_mov_b32 s16, 0xa6aea964
	s_mov_b32 s14, 0xcf328d46
	;; [unrolled: 1-line block ×5, first 2 shown]
	v_fma_f64 v[122:123], v[118:119], s[10:11], v[122:123]
	s_mov_b32 s15, 0x3fed906b
	v_fma_f64 v[92:93], v[88:89], s[8:9], v[84:85]
	v_add_f64 v[96:97], v[58:59], v[112:113]
	v_fma_f64 v[118:119], v[62:63], 2.0, -v[74:75]
	v_fma_f64 v[62:63], v[46:47], 2.0, -v[48:49]
	;; [unrolled: 1-line block ×4, first 2 shown]
	v_add_f64 v[130:131], v[106:107], v[48:49]
	v_fma_f64 v[48:49], v[116:117], s[18:19], v[60:61]
	v_fma_f64 v[76:77], v[108:109], s[8:9], v[40:41]
	;; [unrolled: 1-line block ×4, first 2 shown]
	s_mov_b32 s21, 0xbfed906b
	s_mov_b32 s20, s14
	v_fma_f64 v[46:47], v[96:97], s[10:11], v[92:93]
	v_add_f64 v[92:93], v[68:69], -v[50:51]
	v_fma_f64 v[94:95], v[54:55], 2.0, -v[106:107]
	v_fma_f64 v[40:41], v[64:65], 2.0, -v[52:53]
	;; [unrolled: 1-line block ×4, first 2 shown]
	v_fma_f64 v[52:53], v[96:97], s[8:9], v[130:131]
	v_fma_f64 v[50:51], v[76:77], s[20:21], v[48:49]
	;; [unrolled: 1-line block ×4, first 2 shown]
	v_add_f64 v[78:79], v[118:119], -v[62:63]
	v_add_f64 v[56:57], v[94:95], -v[40:41]
	v_fma_f64 v[110:111], v[110:111], 2.0, -v[124:125]
	v_add_f64 v[70:71], v[64:65], -v[44:45]
	v_fma_f64 v[114:115], v[114:115], 2.0, -v[122:123]
	v_fma_f64 v[58:59], v[84:85], 2.0, -v[46:47]
	v_fma_f64 v[44:45], v[88:89], s[8:9], v[52:53]
	v_fma_f64 v[62:63], v[60:61], 2.0, -v[50:51]
	v_fma_f64 v[84:85], v[74:75], 2.0, -v[84:85]
	;; [unrolled: 1-line block ×6, first 2 shown]
	v_fma_f64 v[48:49], v[116:117], s[14:15], v[48:49]
	v_fma_f64 v[116:117], v[128:129], 2.0, -v[80:81]
	v_fma_f64 v[80:81], v[112:113], 2.0, -v[96:97]
	;; [unrolled: 1-line block ×6, first 2 shown]
	v_fma_f64 v[38:39], v[122:123], s[14:15], v[124:125]
	v_add_f64 v[54:55], v[78:79], -v[92:93]
	v_fma_f64 v[122:123], v[114:115], s[16:17], v[110:111]
	v_fma_f64 v[76:77], v[86:87], s[10:11], v[84:85]
	;; [unrolled: 1-line block ×3, first 2 shown]
	v_fma_f64 v[96:97], v[118:119], 2.0, -v[78:79]
	v_fma_f64 v[64:65], v[64:65], 2.0, -v[70:71]
	;; [unrolled: 1-line block ×4, first 2 shown]
	v_fma_f64 v[90:91], v[72:73], s[20:21], v[112:113]
	v_fma_f64 v[92:93], v[80:81], s[10:11], v[106:107]
	;; [unrolled: 1-line block ×3, first 2 shown]
	v_fma_f64 v[66:67], v[78:79], 2.0, -v[54:55]
	v_add_f64 v[52:53], v[56:57], v[70:71]
	v_fma_f64 v[70:71], v[74:75], s[20:21], v[122:123]
	v_fma_f64 v[74:75], v[80:81], s[10:11], v[76:77]
	;; [unrolled: 1-line block ×3, first 2 shown]
	v_add_f64 v[82:83], v[96:97], -v[64:65]
	v_add_f64 v[80:81], v[118:119], -v[68:69]
	v_fma_f64 v[76:77], v[88:89], s[18:19], v[90:91]
	v_fma_f64 v[72:73], v[86:87], s[8:9], v[92:93]
	;; [unrolled: 1-line block ×4, first 2 shown]
	v_fma_f64 v[90:91], v[84:85], 2.0, -v[74:75]
	v_fma_f64 v[94:95], v[60:61], 2.0, -v[78:79]
	;; [unrolled: 1-line block ×12, first 2 shown]
	v_add_lshl_u32 v103, v103, v101, 4
	ds_write_b128 v103, v[96:99]
	ds_write_b128 v103, v[92:95] offset:16
	ds_write_b128 v103, v[88:91] offset:32
	;; [unrolled: 1-line block ×15, first 2 shown]
.LBB0_13:
	s_or_b64 exec, exec, s[4:5]
	s_waitcnt lgkmcnt(0)
	s_barrier
	ds_read_b128 v[36:39], v105
	ds_read_b128 v[40:43], v105 offset:256
	ds_read_b128 v[44:47], v105 offset:512
	;; [unrolled: 1-line block ×5, first 2 shown]
	s_waitcnt lgkmcnt(4)
	v_mul_f64 v[76:77], v[18:19], v[42:43]
	v_mul_f64 v[18:19], v[18:19], v[40:41]
	s_waitcnt lgkmcnt(3)
	v_mul_f64 v[78:79], v[10:11], v[46:47]
	v_mul_f64 v[10:11], v[10:11], v[44:45]
	ds_read_b128 v[60:63], v105 offset:1536
	ds_read_b128 v[64:67], v105 offset:1792
	;; [unrolled: 1-line block ×4, first 2 shown]
	s_mov_b32 s8, 0x134454ff
	s_mov_b32 s9, 0xbfee6f0e
	v_fma_f64 v[40:41], v[16:17], v[40:41], v[76:77]
	v_fma_f64 v[16:17], v[16:17], v[42:43], -v[18:19]
	s_waitcnt lgkmcnt(6)
	v_mul_f64 v[18:19], v[6:7], v[50:51]
	v_mul_f64 v[6:7], v[6:7], v[48:49]
	v_fma_f64 v[42:43], v[8:9], v[44:45], v[78:79]
	s_waitcnt lgkmcnt(5)
	v_mul_f64 v[44:45], v[2:3], v[54:55]
	v_fma_f64 v[8:9], v[8:9], v[46:47], -v[10:11]
	v_mul_f64 v[2:3], v[2:3], v[52:53]
	s_waitcnt lgkmcnt(4)
	v_mul_f64 v[10:11], v[30:31], v[58:59]
	s_waitcnt lgkmcnt(3)
	v_mul_f64 v[46:47], v[22:23], v[62:63]
	v_fma_f64 v[18:19], v[4:5], v[48:49], v[18:19]
	v_fma_f64 v[4:5], v[4:5], v[50:51], -v[6:7]
	v_mul_f64 v[6:7], v[30:31], v[56:57]
	v_fma_f64 v[30:31], v[0:1], v[52:53], v[44:45]
	v_add_f64 v[44:45], v[36:37], v[42:43]
	v_fma_f64 v[0:1], v[0:1], v[54:55], -v[2:3]
	v_fma_f64 v[2:3], v[28:29], v[56:57], v[10:11]
	v_fma_f64 v[10:11], v[20:21], v[60:61], v[46:47]
	s_waitcnt lgkmcnt(1)
	v_mul_f64 v[46:47], v[26:27], v[68:69]
	v_mul_f64 v[26:27], v[26:27], v[70:71]
	v_fma_f64 v[6:7], v[28:29], v[58:59], -v[6:7]
	v_mul_f64 v[22:23], v[22:23], v[60:61]
	v_add_f64 v[28:29], v[44:45], v[30:31]
	v_mul_f64 v[44:45], v[14:15], v[66:67]
	v_mul_f64 v[14:15], v[14:15], v[64:65]
	v_add_f64 v[48:49], v[30:31], v[10:11]
	v_fma_f64 v[46:47], v[24:25], v[70:71], -v[46:47]
	v_fma_f64 v[24:25], v[24:25], v[68:69], v[26:27]
	s_waitcnt lgkmcnt(0)
	v_mul_f64 v[26:27], v[34:35], v[74:75]
	v_mul_f64 v[34:35], v[34:35], v[72:73]
	v_fma_f64 v[20:21], v[20:21], v[62:63], -v[22:23]
	v_fma_f64 v[22:23], v[12:13], v[64:65], v[44:45]
	v_fma_f64 v[12:13], v[12:13], v[66:67], -v[14:15]
	v_fma_f64 v[44:45], v[48:49], -0.5, v[36:37]
	v_add_f64 v[48:49], v[8:9], -v[46:47]
	v_add_f64 v[52:53], v[42:43], -v[30:31]
	v_fma_f64 v[14:15], v[32:33], v[72:73], v[26:27]
	v_fma_f64 v[26:27], v[32:33], v[74:75], -v[34:35]
	v_add_f64 v[32:33], v[42:43], v[24:25]
	v_add_f64 v[54:55], v[24:25], -v[10:11]
	s_mov_b32 s5, 0x3fee6f0e
	s_mov_b32 s4, s8
	v_add_f64 v[28:29], v[28:29], v[10:11]
	v_fma_f64 v[34:35], v[48:49], s[8:9], v[44:45]
	v_add_f64 v[50:51], v[0:1], -v[20:21]
	v_fma_f64 v[44:45], v[48:49], s[4:5], v[44:45]
	v_fma_f64 v[32:33], v[32:33], -0.5, v[36:37]
	v_add_f64 v[36:37], v[52:53], v[54:55]
	v_add_f64 v[52:53], v[0:1], v[20:21]
	s_mov_b32 s16, 0x4755a5e
	s_mov_b32 s17, 0xbfe2cf23
	s_mov_b32 s11, 0x3fe2cf23
	s_mov_b32 s10, s16
	v_add_f64 v[28:29], v[28:29], v[24:25]
	v_fma_f64 v[34:35], v[50:51], s[16:17], v[34:35]
	v_fma_f64 v[44:45], v[50:51], s[10:11], v[44:45]
	;; [unrolled: 1-line block ×3, first 2 shown]
	v_add_f64 v[56:57], v[30:31], -v[42:43]
	v_add_f64 v[58:59], v[10:11], -v[24:25]
	v_add_f64 v[60:61], v[38:39], v[8:9]
	v_fma_f64 v[52:53], v[52:53], -0.5, v[38:39]
	v_add_f64 v[24:25], v[42:43], -v[24:25]
	s_mov_b32 s14, 0x372fe950
	s_mov_b32 s15, 0x3fd3c6ef
	v_fma_f64 v[34:35], v[36:37], s[14:15], v[34:35]
	v_fma_f64 v[36:37], v[36:37], s[14:15], v[44:45]
	;; [unrolled: 1-line block ×3, first 2 shown]
	v_add_f64 v[44:45], v[56:57], v[58:59]
	v_fma_f64 v[32:33], v[50:51], s[8:9], v[32:33]
	v_add_f64 v[50:51], v[60:61], v[0:1]
	v_fma_f64 v[54:55], v[24:25], s[4:5], v[52:53]
	v_add_f64 v[10:11], v[30:31], -v[10:11]
	v_add_f64 v[30:31], v[8:9], -v[0:1]
	;; [unrolled: 1-line block ×3, first 2 shown]
	v_fma_f64 v[52:53], v[24:25], s[8:9], v[52:53]
	v_add_f64 v[58:59], v[8:9], v[46:47]
	v_fma_f64 v[32:33], v[48:49], s[10:11], v[32:33]
	v_add_f64 v[48:49], v[50:51], v[20:21]
	v_add_f64 v[50:51], v[2:3], v[22:23]
	v_fma_f64 v[54:55], v[10:11], s[10:11], v[54:55]
	v_fma_f64 v[42:43], v[44:45], s[14:15], v[42:43]
	v_add_f64 v[30:31], v[30:31], v[56:57]
	v_fma_f64 v[52:53], v[10:11], s[16:17], v[52:53]
	v_fma_f64 v[38:39], v[58:59], -0.5, v[38:39]
	v_fma_f64 v[32:33], v[44:45], s[14:15], v[32:33]
	v_add_f64 v[44:45], v[48:49], v[46:47]
	v_add_f64 v[48:49], v[40:41], v[18:19]
	v_fma_f64 v[50:51], v[50:51], -0.5, v[40:41]
	v_add_f64 v[56:57], v[4:5], -v[26:27]
	v_fma_f64 v[54:55], v[30:31], s[14:15], v[54:55]
	v_fma_f64 v[52:53], v[30:31], s[14:15], v[52:53]
	;; [unrolled: 1-line block ×3, first 2 shown]
	v_add_f64 v[0:1], v[0:1], -v[8:9]
	v_add_f64 v[8:9], v[20:21], -v[46:47]
	v_fma_f64 v[10:11], v[10:11], s[4:5], v[38:39]
	v_add_f64 v[20:21], v[48:49], v[2:3]
	v_fma_f64 v[38:39], v[56:57], s[8:9], v[50:51]
	v_add_f64 v[46:47], v[6:7], -v[12:13]
	v_add_f64 v[48:49], v[18:19], -v[2:3]
	;; [unrolled: 1-line block ×3, first 2 shown]
	v_add_f64 v[60:61], v[18:19], v[14:15]
	v_fma_f64 v[30:31], v[24:25], s[10:11], v[30:31]
	v_add_f64 v[62:63], v[6:7], v[12:13]
	v_add_f64 v[0:1], v[0:1], v[8:9]
	v_fma_f64 v[8:9], v[24:25], s[16:17], v[10:11]
	v_add_f64 v[10:11], v[20:21], v[22:23]
	v_fma_f64 v[20:21], v[46:47], s[16:17], v[38:39]
	v_add_f64 v[24:25], v[48:49], v[58:59]
	v_fma_f64 v[38:39], v[60:61], -0.5, v[40:41]
	v_fma_f64 v[40:41], v[56:57], s[4:5], v[50:51]
	v_fma_f64 v[48:49], v[62:63], -0.5, v[16:17]
	v_add_f64 v[50:51], v[18:19], -v[14:15]
	v_fma_f64 v[30:31], v[0:1], s[14:15], v[30:31]
	v_fma_f64 v[58:59], v[0:1], s[14:15], v[8:9]
	v_add_f64 v[0:1], v[4:5], v[26:27]
	v_add_f64 v[60:61], v[10:11], v[14:15]
	v_fma_f64 v[10:11], v[24:25], s[14:15], v[20:21]
	v_fma_f64 v[20:21], v[46:47], s[10:11], v[40:41]
	v_add_f64 v[62:63], v[2:3], -v[22:23]
	v_fma_f64 v[40:41], v[50:51], s[4:5], v[48:49]
	v_add_f64 v[64:65], v[4:5], -v[6:7]
	v_add_f64 v[66:67], v[26:27], -v[12:13]
	v_fma_f64 v[0:1], v[0:1], -0.5, v[16:17]
	v_add_f64 v[16:17], v[16:17], v[4:5]
	v_fma_f64 v[8:9], v[46:47], s[4:5], v[38:39]
	v_add_f64 v[2:3], v[2:3], -v[18:19]
	v_add_f64 v[14:15], v[22:23], -v[14:15]
	v_fma_f64 v[18:19], v[46:47], s[8:9], v[38:39]
	v_fma_f64 v[22:23], v[62:63], s[10:11], v[40:41]
	v_add_f64 v[38:39], v[64:65], v[66:67]
	v_fma_f64 v[40:41], v[62:63], s[8:9], v[0:1]
	v_add_f64 v[4:5], v[6:7], -v[4:5]
	v_add_f64 v[46:47], v[12:13], -v[26:27]
	v_fma_f64 v[0:1], v[62:63], s[4:5], v[0:1]
	v_add_f64 v[6:7], v[16:17], v[6:7]
	v_fma_f64 v[16:17], v[50:51], s[8:9], v[48:49]
	v_fma_f64 v[8:9], v[56:57], s[16:17], v[8:9]
	v_add_f64 v[2:3], v[2:3], v[14:15]
	v_fma_f64 v[14:15], v[56:57], s[10:11], v[18:19]
	v_fma_f64 v[18:19], v[38:39], s[14:15], v[22:23]
	;; [unrolled: 1-line block ×3, first 2 shown]
	v_add_f64 v[4:5], v[4:5], v[46:47]
	v_fma_f64 v[0:1], v[50:51], s[16:17], v[0:1]
	v_add_f64 v[6:7], v[6:7], v[12:13]
	v_fma_f64 v[12:13], v[62:63], s[16:17], v[16:17]
	v_fma_f64 v[16:17], v[24:25], s[14:15], v[20:21]
	;; [unrolled: 1-line block ×4, first 2 shown]
	v_mul_f64 v[14:15], v[18:19], s[16:17]
	v_fma_f64 v[20:21], v[4:5], s[14:15], v[22:23]
	v_fma_f64 v[4:5], v[4:5], s[14:15], v[0:1]
	v_add_f64 v[22:23], v[6:7], v[26:27]
	v_fma_f64 v[6:7], v[38:39], s[14:15], v[12:13]
	s_mov_b32 s18, 0x9b97f4a8
	s_mov_b32 s19, 0x3fe9e377
	v_mul_f64 v[18:19], v[18:19], s[18:19]
	v_fma_f64 v[24:25], v[10:11], s[18:19], v[14:15]
	v_mul_f64 v[12:13], v[20:21], s[8:9]
	v_mul_f64 v[14:15], v[4:5], s[8:9]
	s_mov_b32 s9, 0xbfd3c6ef
	s_mov_b32 s8, s14
	v_mul_f64 v[20:21], v[20:21], s[14:15]
	v_mul_f64 v[26:27], v[6:7], s[16:17]
	s_mov_b32 s17, 0xbfe9e377
	s_mov_b32 s16, s18
	v_mul_f64 v[38:39], v[4:5], s[8:9]
	v_mul_f64 v[6:7], v[6:7], s[16:17]
	v_fma_f64 v[48:49], v[10:11], s[10:11], v[18:19]
	v_fma_f64 v[40:41], v[8:9], s[14:15], v[12:13]
	;; [unrolled: 1-line block ×5, first 2 shown]
	v_add_f64 v[0:1], v[28:29], v[60:61]
	v_fma_f64 v[38:39], v[2:3], s[4:5], v[38:39]
	v_fma_f64 v[56:57], v[16:17], s[10:11], v[6:7]
	v_add_f64 v[2:3], v[44:45], v[22:23]
	v_add_f64 v[4:5], v[34:35], v[24:25]
	;; [unrolled: 1-line block ×9, first 2 shown]
	v_add_f64 v[20:21], v[28:29], -v[60:61]
	v_add_f64 v[22:23], v[44:45], -v[22:23]
	;; [unrolled: 1-line block ×10, first 2 shown]
	ds_write_b128 v105, v[0:3]
	ds_write_b128 v105, v[4:7] offset:256
	ds_write_b128 v104, v[8:11] offset:512
	;; [unrolled: 1-line block ×9, first 2 shown]
	s_waitcnt lgkmcnt(0)
	s_barrier
	s_and_b64 exec, exec, vcc
	s_cbranch_execz .LBB0_15
; %bb.14:
	global_load_dwordx4 v[0:3], v101, s[6:7]
	global_load_dwordx4 v[4:7], v101, s[6:7] offset:160
	global_load_dwordx4 v[8:11], v101, s[6:7] offset:320
	;; [unrolled: 1-line block ×6, first 2 shown]
	ds_read_b128 v[28:31], v105
	ds_read_b128 v[32:35], v104 offset:160
	ds_read_b128 v[36:39], v104 offset:320
	ds_read_b128 v[40:43], v104 offset:480
	ds_read_b128 v[44:47], v104 offset:640
	ds_read_b128 v[48:51], v104 offset:800
	ds_read_b128 v[52:55], v104 offset:960
	ds_read_b128 v[56:59], v104 offset:1120
	global_load_dwordx4 v[60:63], v101, s[6:7] offset:1120
	global_load_dwordx4 v[64:67], v101, s[6:7] offset:1280
	;; [unrolled: 1-line block ×5, first 2 shown]
	v_mad_u64_u32 v[80:81], s[4:5], s2, v100, 0
	v_mad_u64_u32 v[82:83], s[8:9], s0, v102, 0
	s_mul_i32 s2, s1, 0xa0
	s_mul_hi_u32 s8, s0, 0xa0
	s_add_i32 s2, s8, s2
	v_mad_u64_u32 v[84:85], s[8:9], s3, v100, v[81:82]
	v_mov_b32_e32 v87, s13
	s_mulk_i32 s0, 0xa0
	v_mad_u64_u32 v[85:86], s[8:9], s1, v102, v[83:84]
	v_mov_b32_e32 v81, v84
	v_lshlrev_b64 v[80:81], 4, v[80:81]
	v_mov_b32_e32 v83, v85
	v_lshlrev_b64 v[82:83], 4, v[82:83]
	v_add_co_u32_e32 v80, vcc, s12, v80
	v_addc_co_u32_e32 v81, vcc, v87, v81, vcc
	v_add_co_u32_e32 v80, vcc, v80, v82
	v_addc_co_u32_e32 v81, vcc, v81, v83, vcc
	v_mov_b32_e32 v88, s2
	v_add_co_u32_e32 v82, vcc, s0, v80
	v_addc_co_u32_e32 v83, vcc, v81, v88, vcc
	v_mov_b32_e32 v89, s2
	;; [unrolled: 3-line block ×3, first 2 shown]
	v_add_co_u32_e32 v86, vcc, s0, v84
	v_addc_co_u32_e32 v87, vcc, v85, v90, vcc
	s_mov_b32 s4, 0x9999999a
	s_mov_b32 s5, 0x3f799999
	v_mov_b32_e32 v100, s2
	s_waitcnt vmcnt(11) lgkmcnt(7)
	v_mul_f64 v[88:89], v[30:31], v[2:3]
	v_mul_f64 v[2:3], v[28:29], v[2:3]
	s_waitcnt vmcnt(10) lgkmcnt(6)
	v_mul_f64 v[90:91], v[34:35], v[6:7]
	v_mul_f64 v[6:7], v[32:33], v[6:7]
	;; [unrolled: 3-line block ×6, first 2 shown]
	v_fma_f64 v[28:29], v[28:29], v[0:1], v[88:89]
	v_fma_f64 v[2:3], v[0:1], v[30:31], -v[2:3]
	v_fma_f64 v[30:31], v[32:33], v[4:5], v[90:91]
	v_fma_f64 v[6:7], v[4:5], v[34:35], -v[6:7]
	;; [unrolled: 2-line block ×4, first 2 shown]
	s_waitcnt vmcnt(5) lgkmcnt(1)
	v_mul_f64 v[102:103], v[54:55], v[26:27]
	v_fma_f64 v[36:37], v[44:45], v[16:17], v[96:97]
	v_fma_f64 v[18:19], v[16:17], v[46:47], -v[18:19]
	v_mul_f64 v[0:1], v[28:29], s[4:5]
	v_mul_f64 v[2:3], v[2:3], s[4:5]
	v_fma_f64 v[28:29], v[48:49], v[20:21], v[98:99]
	v_fma_f64 v[20:21], v[20:21], v[50:51], -v[22:23]
	v_mul_f64 v[4:5], v[30:31], s[4:5]
	v_mul_f64 v[6:7], v[6:7], s[4:5]
	;; [unrolled: 1-line block ×9, first 2 shown]
	global_store_dwordx4 v[80:81], v[0:3], off
	global_store_dwordx4 v[82:83], v[4:7], off
	global_store_dwordx4 v[84:85], v[8:11], off
	global_store_dwordx4 v[86:87], v[12:15], off
	v_mul_f64 v[0:1], v[28:29], s[4:5]
	v_mul_f64 v[2:3], v[20:21], s[4:5]
	v_fma_f64 v[6:7], v[52:53], v[24:25], v[102:103]
	v_add_co_u32_e32 v4, vcc, s0, v86
	v_fma_f64 v[8:9], v[24:25], v[54:55], -v[26:27]
	s_waitcnt vmcnt(8) lgkmcnt(0)
	v_mul_f64 v[10:11], v[58:59], v[62:63]
	v_mul_f64 v[12:13], v[56:57], v[62:63]
	v_addc_co_u32_e32 v5, vcc, v87, v100, vcc
	v_mov_b32_e32 v15, s2
	v_add_co_u32_e32 v14, vcc, s0, v4
	v_addc_co_u32_e32 v15, vcc, v5, v15, vcc
	global_store_dwordx4 v[4:5], v[16:19], off
	global_store_dwordx4 v[14:15], v[0:3], off
	v_fma_f64 v[16:17], v[56:57], v[60:61], v[10:11]
	v_mul_f64 v[0:1], v[6:7], s[4:5]
	ds_read_b128 v[4:7], v104 offset:1280
	v_mul_f64 v[2:3], v[8:9], s[4:5]
	ds_read_b128 v[8:11], v104 offset:1440
	v_fma_f64 v[12:13], v[60:61], v[58:59], -v[12:13]
	v_mov_b32_e32 v22, s2
	s_waitcnt vmcnt(9) lgkmcnt(1)
	v_mul_f64 v[18:19], v[6:7], v[66:67]
	v_mul_f64 v[20:21], v[4:5], v[66:67]
	v_add_co_u32_e32 v14, vcc, s0, v14
	v_addc_co_u32_e32 v15, vcc, v15, v22, vcc
	global_store_dwordx4 v[14:15], v[0:3], off
	v_add_co_u32_e32 v14, vcc, s0, v14
	v_mul_f64 v[0:1], v[16:17], s[4:5]
	v_mul_f64 v[2:3], v[12:13], s[4:5]
	v_fma_f64 v[4:5], v[4:5], v[64:65], v[18:19]
	v_fma_f64 v[6:7], v[64:65], v[6:7], -v[20:21]
	s_waitcnt vmcnt(9) lgkmcnt(0)
	v_mul_f64 v[12:13], v[10:11], v[70:71]
	v_mul_f64 v[16:17], v[8:9], v[70:71]
	v_addc_co_u32_e32 v15, vcc, v15, v22, vcc
	v_mov_b32_e32 v18, s2
	global_store_dwordx4 v[14:15], v[0:3], off
	v_add_co_u32_e32 v14, vcc, s0, v14
	v_mul_f64 v[0:1], v[4:5], s[4:5]
	v_mul_f64 v[2:3], v[6:7], s[4:5]
	v_fma_f64 v[12:13], v[8:9], v[68:69], v[12:13]
	v_fma_f64 v[16:17], v[68:69], v[10:11], -v[16:17]
	ds_read_b128 v[4:7], v104 offset:1600
	ds_read_b128 v[8:11], v104 offset:1760
	v_addc_co_u32_e32 v15, vcc, v15, v18, vcc
	s_waitcnt vmcnt(9) lgkmcnt(1)
	v_mul_f64 v[18:19], v[6:7], v[74:75]
	v_mul_f64 v[20:21], v[4:5], v[74:75]
	s_waitcnt vmcnt(8) lgkmcnt(0)
	v_mul_f64 v[22:23], v[10:11], v[78:79]
	v_mul_f64 v[24:25], v[8:9], v[78:79]
	global_store_dwordx4 v[14:15], v[0:3], off
	v_fma_f64 v[4:5], v[4:5], v[72:73], v[18:19]
	v_mul_f64 v[0:1], v[12:13], s[4:5]
	v_mul_f64 v[2:3], v[16:17], s[4:5]
	v_fma_f64 v[6:7], v[72:73], v[6:7], -v[20:21]
	v_fma_f64 v[8:9], v[8:9], v[76:77], v[22:23]
	v_fma_f64 v[10:11], v[76:77], v[10:11], -v[24:25]
	v_mov_b32_e32 v13, s2
	v_add_co_u32_e32 v12, vcc, s0, v14
	v_addc_co_u32_e32 v13, vcc, v15, v13, vcc
	global_store_dwordx4 v[12:13], v[0:3], off
	v_mov_b32_e32 v14, s2
	v_mul_f64 v[0:1], v[4:5], s[4:5]
	v_mul_f64 v[2:3], v[6:7], s[4:5]
	;; [unrolled: 1-line block ×4, first 2 shown]
	v_add_co_u32_e32 v8, vcc, s0, v12
	v_addc_co_u32_e32 v9, vcc, v13, v14, vcc
	v_add_co_u32_e32 v12, vcc, s0, v8
	global_store_dwordx4 v[8:9], v[0:3], off
	s_nop 0
	v_mov_b32_e32 v0, s2
	v_addc_co_u32_e32 v13, vcc, v9, v0, vcc
	global_store_dwordx4 v[12:13], v[4:7], off
	global_load_dwordx4 v[0:3], v101, s[6:7] offset:1920
	ds_read_b128 v[4:7], v104 offset:1920
	ds_read_b128 v[8:11], v104 offset:2080
	s_waitcnt vmcnt(0) lgkmcnt(1)
	v_mul_f64 v[14:15], v[6:7], v[2:3]
	v_mul_f64 v[2:3], v[4:5], v[2:3]
	v_fma_f64 v[4:5], v[4:5], v[0:1], v[14:15]
	v_fma_f64 v[2:3], v[0:1], v[6:7], -v[2:3]
	v_mul_f64 v[0:1], v[4:5], s[4:5]
	v_mul_f64 v[2:3], v[2:3], s[4:5]
	v_mov_b32_e32 v5, s2
	v_add_co_u32_e32 v4, vcc, s0, v12
	v_addc_co_u32_e32 v5, vcc, v13, v5, vcc
	v_add_co_u32_e32 v12, vcc, s0, v4
	global_store_dwordx4 v[4:5], v[0:3], off
	global_load_dwordx4 v[0:3], v101, s[6:7] offset:2080
	s_waitcnt vmcnt(0) lgkmcnt(0)
	v_mul_f64 v[6:7], v[10:11], v[2:3]
	v_mul_f64 v[2:3], v[8:9], v[2:3]
	v_fma_f64 v[6:7], v[8:9], v[0:1], v[6:7]
	v_fma_f64 v[2:3], v[0:1], v[10:11], -v[2:3]
	v_mul_f64 v[0:1], v[6:7], s[4:5]
	v_mul_f64 v[2:3], v[2:3], s[4:5]
	v_mov_b32_e32 v6, s2
	v_addc_co_u32_e32 v13, vcc, v5, v6, vcc
	global_store_dwordx4 v[12:13], v[0:3], off
	global_load_dwordx4 v[0:3], v101, s[6:7] offset:2240
	ds_read_b128 v[4:7], v104 offset:2240
	ds_read_b128 v[8:11], v104 offset:2400
	s_waitcnt vmcnt(0) lgkmcnt(1)
	v_mul_f64 v[14:15], v[6:7], v[2:3]
	v_mul_f64 v[2:3], v[4:5], v[2:3]
	v_fma_f64 v[4:5], v[4:5], v[0:1], v[14:15]
	v_fma_f64 v[2:3], v[0:1], v[6:7], -v[2:3]
	v_mul_f64 v[0:1], v[4:5], s[4:5]
	v_mul_f64 v[2:3], v[2:3], s[4:5]
	v_mov_b32_e32 v5, s2
	v_add_co_u32_e32 v4, vcc, s0, v12
	v_addc_co_u32_e32 v5, vcc, v13, v5, vcc
	global_store_dwordx4 v[4:5], v[0:3], off
	global_load_dwordx4 v[0:3], v101, s[6:7] offset:2400
	v_add_co_u32_e32 v4, vcc, s0, v4
	s_waitcnt vmcnt(0) lgkmcnt(0)
	v_mul_f64 v[6:7], v[10:11], v[2:3]
	v_mul_f64 v[2:3], v[8:9], v[2:3]
	v_fma_f64 v[6:7], v[8:9], v[0:1], v[6:7]
	v_fma_f64 v[2:3], v[0:1], v[10:11], -v[2:3]
	v_mul_f64 v[0:1], v[6:7], s[4:5]
	v_mul_f64 v[2:3], v[2:3], s[4:5]
	v_mov_b32_e32 v6, s2
	v_addc_co_u32_e32 v5, vcc, v5, v6, vcc
	global_store_dwordx4 v[4:5], v[0:3], off
.LBB0_15:
	s_endpgm
	.section	.rodata,"a",@progbits
	.p2align	6, 0x0
	.amdhsa_kernel bluestein_single_fwd_len160_dim1_dp_op_CI_CI
		.amdhsa_group_segment_fixed_size 40960
		.amdhsa_private_segment_fixed_size 0
		.amdhsa_kernarg_size 104
		.amdhsa_user_sgpr_count 6
		.amdhsa_user_sgpr_private_segment_buffer 1
		.amdhsa_user_sgpr_dispatch_ptr 0
		.amdhsa_user_sgpr_queue_ptr 0
		.amdhsa_user_sgpr_kernarg_segment_ptr 1
		.amdhsa_user_sgpr_dispatch_id 0
		.amdhsa_user_sgpr_flat_scratch_init 0
		.amdhsa_user_sgpr_private_segment_size 0
		.amdhsa_uses_dynamic_stack 0
		.amdhsa_system_sgpr_private_segment_wavefront_offset 0
		.amdhsa_system_sgpr_workgroup_id_x 1
		.amdhsa_system_sgpr_workgroup_id_y 0
		.amdhsa_system_sgpr_workgroup_id_z 0
		.amdhsa_system_sgpr_workgroup_info 0
		.amdhsa_system_vgpr_workitem_id 0
		.amdhsa_next_free_vgpr 152
		.amdhsa_next_free_sgpr 22
		.amdhsa_reserve_vcc 1
		.amdhsa_reserve_flat_scratch 0
		.amdhsa_float_round_mode_32 0
		.amdhsa_float_round_mode_16_64 0
		.amdhsa_float_denorm_mode_32 3
		.amdhsa_float_denorm_mode_16_64 3
		.amdhsa_dx10_clamp 1
		.amdhsa_ieee_mode 1
		.amdhsa_fp16_overflow 0
		.amdhsa_exception_fp_ieee_invalid_op 0
		.amdhsa_exception_fp_denorm_src 0
		.amdhsa_exception_fp_ieee_div_zero 0
		.amdhsa_exception_fp_ieee_overflow 0
		.amdhsa_exception_fp_ieee_underflow 0
		.amdhsa_exception_fp_ieee_inexact 0
		.amdhsa_exception_int_div_zero 0
	.end_amdhsa_kernel
	.text
.Lfunc_end0:
	.size	bluestein_single_fwd_len160_dim1_dp_op_CI_CI, .Lfunc_end0-bluestein_single_fwd_len160_dim1_dp_op_CI_CI
                                        ; -- End function
	.section	.AMDGPU.csdata,"",@progbits
; Kernel info:
; codeLenInByte = 10860
; NumSgprs: 26
; NumVgprs: 152
; ScratchSize: 0
; MemoryBound: 0
; FloatMode: 240
; IeeeMode: 1
; LDSByteSize: 40960 bytes/workgroup (compile time only)
; SGPRBlocks: 3
; VGPRBlocks: 37
; NumSGPRsForWavesPerEU: 26
; NumVGPRsForWavesPerEU: 152
; Occupancy: 1
; WaveLimiterHint : 1
; COMPUTE_PGM_RSRC2:SCRATCH_EN: 0
; COMPUTE_PGM_RSRC2:USER_SGPR: 6
; COMPUTE_PGM_RSRC2:TRAP_HANDLER: 0
; COMPUTE_PGM_RSRC2:TGID_X_EN: 1
; COMPUTE_PGM_RSRC2:TGID_Y_EN: 0
; COMPUTE_PGM_RSRC2:TGID_Z_EN: 0
; COMPUTE_PGM_RSRC2:TIDIG_COMP_CNT: 0
	.type	__hip_cuid_97fb54d1836f1aca,@object ; @__hip_cuid_97fb54d1836f1aca
	.section	.bss,"aw",@nobits
	.globl	__hip_cuid_97fb54d1836f1aca
__hip_cuid_97fb54d1836f1aca:
	.byte	0                               ; 0x0
	.size	__hip_cuid_97fb54d1836f1aca, 1

	.ident	"AMD clang version 19.0.0git (https://github.com/RadeonOpenCompute/llvm-project roc-6.4.0 25133 c7fe45cf4b819c5991fe208aaa96edf142730f1d)"
	.section	".note.GNU-stack","",@progbits
	.addrsig
	.addrsig_sym __hip_cuid_97fb54d1836f1aca
	.amdgpu_metadata
---
amdhsa.kernels:
  - .args:
      - .actual_access:  read_only
        .address_space:  global
        .offset:         0
        .size:           8
        .value_kind:     global_buffer
      - .actual_access:  read_only
        .address_space:  global
        .offset:         8
        .size:           8
        .value_kind:     global_buffer
      - .actual_access:  read_only
        .address_space:  global
        .offset:         16
        .size:           8
        .value_kind:     global_buffer
      - .actual_access:  read_only
        .address_space:  global
        .offset:         24
        .size:           8
        .value_kind:     global_buffer
      - .actual_access:  read_only
        .address_space:  global
        .offset:         32
        .size:           8
        .value_kind:     global_buffer
      - .offset:         40
        .size:           8
        .value_kind:     by_value
      - .address_space:  global
        .offset:         48
        .size:           8
        .value_kind:     global_buffer
      - .address_space:  global
        .offset:         56
        .size:           8
        .value_kind:     global_buffer
      - .address_space:  global
        .offset:         64
        .size:           8
        .value_kind:     global_buffer
      - .address_space:  global
        .offset:         72
        .size:           8
        .value_kind:     global_buffer
      - .offset:         80
        .size:           4
        .value_kind:     by_value
      - .address_space:  global
        .offset:         88
        .size:           8
        .value_kind:     global_buffer
      - .address_space:  global
        .offset:         96
        .size:           8
        .value_kind:     global_buffer
    .group_segment_fixed_size: 40960
    .kernarg_segment_align: 8
    .kernarg_segment_size: 104
    .language:       OpenCL C
    .language_version:
      - 2
      - 0
    .max_flat_workgroup_size: 256
    .name:           bluestein_single_fwd_len160_dim1_dp_op_CI_CI
    .private_segment_fixed_size: 0
    .sgpr_count:     26
    .sgpr_spill_count: 0
    .symbol:         bluestein_single_fwd_len160_dim1_dp_op_CI_CI.kd
    .uniform_work_group_size: 1
    .uses_dynamic_stack: false
    .vgpr_count:     152
    .vgpr_spill_count: 0
    .wavefront_size: 64
amdhsa.target:   amdgcn-amd-amdhsa--gfx906
amdhsa.version:
  - 1
  - 2
...

	.end_amdgpu_metadata
